;; amdgpu-corpus repo=ROCm/rocFFT kind=compiled arch=gfx906 opt=O3
	.text
	.amdgcn_target "amdgcn-amd-amdhsa--gfx906"
	.amdhsa_code_object_version 6
	.protected	fft_rtc_back_len50_factors_10_5_wgs_250_tpt_10_halfLds_dp_ip_CI_sbrr_dirReg ; -- Begin function fft_rtc_back_len50_factors_10_5_wgs_250_tpt_10_halfLds_dp_ip_CI_sbrr_dirReg
	.globl	fft_rtc_back_len50_factors_10_5_wgs_250_tpt_10_halfLds_dp_ip_CI_sbrr_dirReg
	.p2align	8
	.type	fft_rtc_back_len50_factors_10_5_wgs_250_tpt_10_halfLds_dp_ip_CI_sbrr_dirReg,@function
fft_rtc_back_len50_factors_10_5_wgs_250_tpt_10_halfLds_dp_ip_CI_sbrr_dirReg: ; @fft_rtc_back_len50_factors_10_5_wgs_250_tpt_10_halfLds_dp_ip_CI_sbrr_dirReg
; %bb.0:
	s_load_dwordx2 s[14:15], s[4:5], 0x18
	s_load_dwordx4 s[8:11], s[4:5], 0x0
	s_load_dwordx2 s[12:13], s[4:5], 0x50
	v_mul_u32_u24_e32 v1, 0x199a, v0
	v_lshrrev_b32_e32 v1, 16, v1
	v_mad_u64_u32 v[40:41], s[0:1], s6, 25, v[1:2]
	s_waitcnt lgkmcnt(0)
	s_load_dwordx2 s[2:3], s[14:15], 0x0
	v_mov_b32_e32 v3, 0
	v_cmp_lt_u64_e64 s[0:1], s[10:11], 2
	v_mov_b32_e32 v41, v3
	v_mov_b32_e32 v1, 0
	;; [unrolled: 1-line block ×3, first 2 shown]
	s_and_b64 vcc, exec, s[0:1]
	v_mov_b32_e32 v2, 0
	v_mov_b32_e32 v8, v41
	s_cbranch_vccnz .LBB0_8
; %bb.1:
	s_load_dwordx2 s[0:1], s[4:5], 0x10
	s_add_u32 s6, s14, 8
	s_addc_u32 s7, s15, 0
	v_mov_b32_e32 v1, 0
	v_mov_b32_e32 v5, v40
	s_waitcnt lgkmcnt(0)
	s_add_u32 s18, s0, 8
	s_mov_b64 s[16:17], 1
	v_mov_b32_e32 v2, 0
	s_addc_u32 s19, s1, 0
	v_mov_b32_e32 v6, v41
.LBB0_2:                                ; =>This Inner Loop Header: Depth=1
	s_load_dwordx2 s[20:21], s[18:19], 0x0
                                        ; implicit-def: $vgpr7_vgpr8
	s_waitcnt lgkmcnt(0)
	v_or_b32_e32 v4, s21, v6
	v_cmp_ne_u64_e32 vcc, 0, v[3:4]
	s_and_saveexec_b64 s[0:1], vcc
	s_xor_b64 s[22:23], exec, s[0:1]
	s_cbranch_execz .LBB0_4
; %bb.3:                                ;   in Loop: Header=BB0_2 Depth=1
	v_cvt_f32_u32_e32 v4, s20
	v_cvt_f32_u32_e32 v7, s21
	s_sub_u32 s0, 0, s20
	s_subb_u32 s1, 0, s21
	v_mac_f32_e32 v4, 0x4f800000, v7
	v_rcp_f32_e32 v4, v4
	v_mul_f32_e32 v4, 0x5f7ffffc, v4
	v_mul_f32_e32 v7, 0x2f800000, v4
	v_trunc_f32_e32 v7, v7
	v_mac_f32_e32 v4, 0xcf800000, v7
	v_cvt_u32_f32_e32 v7, v7
	v_cvt_u32_f32_e32 v4, v4
	v_mul_lo_u32 v8, s0, v7
	v_mul_hi_u32 v9, s0, v4
	v_mul_lo_u32 v11, s1, v4
	v_mul_lo_u32 v10, s0, v4
	v_add_u32_e32 v8, v9, v8
	v_add_u32_e32 v8, v8, v11
	v_mul_hi_u32 v9, v4, v10
	v_mul_lo_u32 v11, v4, v8
	v_mul_hi_u32 v13, v4, v8
	v_mul_hi_u32 v12, v7, v10
	v_mul_lo_u32 v10, v7, v10
	v_mul_hi_u32 v14, v7, v8
	v_add_co_u32_e32 v9, vcc, v9, v11
	v_addc_co_u32_e32 v11, vcc, 0, v13, vcc
	v_mul_lo_u32 v8, v7, v8
	v_add_co_u32_e32 v9, vcc, v9, v10
	v_addc_co_u32_e32 v9, vcc, v11, v12, vcc
	v_addc_co_u32_e32 v10, vcc, 0, v14, vcc
	v_add_co_u32_e32 v8, vcc, v9, v8
	v_addc_co_u32_e32 v9, vcc, 0, v10, vcc
	v_add_co_u32_e32 v4, vcc, v4, v8
	v_addc_co_u32_e32 v7, vcc, v7, v9, vcc
	v_mul_lo_u32 v8, s0, v7
	v_mul_hi_u32 v9, s0, v4
	v_mul_lo_u32 v10, s1, v4
	v_mul_lo_u32 v11, s0, v4
	v_add_u32_e32 v8, v9, v8
	v_add_u32_e32 v8, v8, v10
	v_mul_lo_u32 v12, v4, v8
	v_mul_hi_u32 v13, v4, v11
	v_mul_hi_u32 v14, v4, v8
	;; [unrolled: 1-line block ×3, first 2 shown]
	v_mul_lo_u32 v11, v7, v11
	v_mul_hi_u32 v9, v7, v8
	v_add_co_u32_e32 v12, vcc, v13, v12
	v_addc_co_u32_e32 v13, vcc, 0, v14, vcc
	v_mul_lo_u32 v8, v7, v8
	v_add_co_u32_e32 v11, vcc, v12, v11
	v_addc_co_u32_e32 v10, vcc, v13, v10, vcc
	v_addc_co_u32_e32 v9, vcc, 0, v9, vcc
	v_add_co_u32_e32 v8, vcc, v10, v8
	v_addc_co_u32_e32 v9, vcc, 0, v9, vcc
	v_add_co_u32_e32 v4, vcc, v4, v8
	v_addc_co_u32_e32 v9, vcc, v7, v9, vcc
	v_mad_u64_u32 v[7:8], s[0:1], v5, v9, 0
	v_mul_hi_u32 v10, v5, v4
	v_add_co_u32_e32 v11, vcc, v10, v7
	v_addc_co_u32_e32 v12, vcc, 0, v8, vcc
	v_mad_u64_u32 v[7:8], s[0:1], v6, v4, 0
	v_mad_u64_u32 v[9:10], s[0:1], v6, v9, 0
	v_add_co_u32_e32 v4, vcc, v11, v7
	v_addc_co_u32_e32 v4, vcc, v12, v8, vcc
	v_addc_co_u32_e32 v7, vcc, 0, v10, vcc
	v_add_co_u32_e32 v4, vcc, v4, v9
	v_addc_co_u32_e32 v9, vcc, 0, v7, vcc
	v_mul_lo_u32 v10, s21, v4
	v_mul_lo_u32 v11, s20, v9
	v_mad_u64_u32 v[7:8], s[0:1], s20, v4, 0
	v_add3_u32 v8, v8, v11, v10
	v_sub_u32_e32 v10, v6, v8
	v_mov_b32_e32 v11, s21
	v_sub_co_u32_e32 v7, vcc, v5, v7
	v_subb_co_u32_e64 v10, s[0:1], v10, v11, vcc
	v_subrev_co_u32_e64 v11, s[0:1], s20, v7
	v_subbrev_co_u32_e64 v10, s[0:1], 0, v10, s[0:1]
	v_cmp_le_u32_e64 s[0:1], s21, v10
	v_cndmask_b32_e64 v12, 0, -1, s[0:1]
	v_cmp_le_u32_e64 s[0:1], s20, v11
	v_cndmask_b32_e64 v11, 0, -1, s[0:1]
	v_cmp_eq_u32_e64 s[0:1], s21, v10
	v_cndmask_b32_e64 v10, v12, v11, s[0:1]
	v_add_co_u32_e64 v11, s[0:1], 2, v4
	v_addc_co_u32_e64 v12, s[0:1], 0, v9, s[0:1]
	v_add_co_u32_e64 v13, s[0:1], 1, v4
	v_addc_co_u32_e64 v14, s[0:1], 0, v9, s[0:1]
	v_subb_co_u32_e32 v8, vcc, v6, v8, vcc
	v_cmp_ne_u32_e64 s[0:1], 0, v10
	v_cmp_le_u32_e32 vcc, s21, v8
	v_cndmask_b32_e64 v10, v14, v12, s[0:1]
	v_cndmask_b32_e64 v12, 0, -1, vcc
	v_cmp_le_u32_e32 vcc, s20, v7
	v_cndmask_b32_e64 v7, 0, -1, vcc
	v_cmp_eq_u32_e32 vcc, s21, v8
	v_cndmask_b32_e32 v7, v12, v7, vcc
	v_cmp_ne_u32_e32 vcc, 0, v7
	v_cndmask_b32_e64 v7, v13, v11, s[0:1]
	v_cndmask_b32_e32 v8, v9, v10, vcc
	v_cndmask_b32_e32 v7, v4, v7, vcc
.LBB0_4:                                ;   in Loop: Header=BB0_2 Depth=1
	s_andn2_saveexec_b64 s[0:1], s[22:23]
	s_cbranch_execz .LBB0_6
; %bb.5:                                ;   in Loop: Header=BB0_2 Depth=1
	v_cvt_f32_u32_e32 v4, s20
	s_sub_i32 s22, 0, s20
	v_rcp_iflag_f32_e32 v4, v4
	v_mul_f32_e32 v4, 0x4f7ffffe, v4
	v_cvt_u32_f32_e32 v4, v4
	v_mul_lo_u32 v7, s22, v4
	v_mul_hi_u32 v7, v4, v7
	v_add_u32_e32 v4, v4, v7
	v_mul_hi_u32 v4, v5, v4
	v_mul_lo_u32 v7, v4, s20
	v_add_u32_e32 v8, 1, v4
	v_sub_u32_e32 v7, v5, v7
	v_subrev_u32_e32 v9, s20, v7
	v_cmp_le_u32_e32 vcc, s20, v7
	v_cndmask_b32_e32 v7, v7, v9, vcc
	v_cndmask_b32_e32 v4, v4, v8, vcc
	v_add_u32_e32 v8, 1, v4
	v_cmp_le_u32_e32 vcc, s20, v7
	v_cndmask_b32_e32 v7, v4, v8, vcc
	v_mov_b32_e32 v8, v3
.LBB0_6:                                ;   in Loop: Header=BB0_2 Depth=1
	s_or_b64 exec, exec, s[0:1]
	v_mul_lo_u32 v4, v8, s20
	v_mul_lo_u32 v11, v7, s21
	v_mad_u64_u32 v[9:10], s[0:1], v7, s20, 0
	s_load_dwordx2 s[0:1], s[6:7], 0x0
	s_add_u32 s16, s16, 1
	v_add3_u32 v4, v10, v11, v4
	v_sub_co_u32_e32 v5, vcc, v5, v9
	v_subb_co_u32_e32 v4, vcc, v6, v4, vcc
	s_waitcnt lgkmcnt(0)
	v_mul_lo_u32 v4, s0, v4
	v_mul_lo_u32 v6, s1, v5
	v_mad_u64_u32 v[1:2], s[0:1], s0, v5, v[1:2]
	s_addc_u32 s17, s17, 0
	s_add_u32 s6, s6, 8
	v_add3_u32 v2, v6, v2, v4
	v_mov_b32_e32 v4, s10
	v_mov_b32_e32 v5, s11
	s_addc_u32 s7, s7, 0
	v_cmp_ge_u64_e32 vcc, s[16:17], v[4:5]
	s_add_u32 s18, s18, 8
	s_addc_u32 s19, s19, 0
	s_cbranch_vccnz .LBB0_8
; %bb.7:                                ;   in Loop: Header=BB0_2 Depth=1
	v_mov_b32_e32 v5, v7
	v_mov_b32_e32 v6, v8
	s_branch .LBB0_2
.LBB0_8:
	s_lshl_b64 s[0:1], s[10:11], 3
	s_add_u32 s0, s14, s0
	s_addc_u32 s1, s15, s1
	s_load_dwordx2 s[6:7], s[0:1], 0x0
	s_load_dwordx2 s[10:11], s[4:5], 0x20
	v_mov_b32_e32 v67, 0
                                        ; implicit-def: $vgpr14_vgpr15
                                        ; implicit-def: $vgpr18_vgpr19
                                        ; implicit-def: $vgpr10_vgpr11
                                        ; implicit-def: $vgpr38_vgpr39
                                        ; implicit-def: $vgpr26_vgpr27
                                        ; implicit-def: $vgpr30_vgpr31
                                        ; implicit-def: $vgpr22_vgpr23
                                        ; implicit-def: $vgpr34_vgpr35
	s_waitcnt lgkmcnt(0)
	v_mad_u64_u32 v[48:49], s[0:1], s6, v7, v[1:2]
	s_mov_b32 s0, 0x1999999a
	v_mul_hi_u32 v1, v0, s0
	v_mul_lo_u32 v3, s6, v8
	v_mul_lo_u32 v4, s7, v7
	v_cmp_gt_u64_e32 vcc, s[10:11], v[7:8]
	v_mul_u32_u24_e32 v1, 10, v1
	v_sub_u32_e32 v66, v0, v1
	v_add3_u32 v49, v4, v49, v3
                                        ; implicit-def: $vgpr2_vgpr3
                                        ; implicit-def: $vgpr6_vgpr7
	s_and_saveexec_b64 s[4:5], vcc
	s_cbranch_execz .LBB0_12
; %bb.9:
	v_cmp_gt_u32_e64 s[0:1], 5, v66
                                        ; implicit-def: $vgpr32_vgpr33
                                        ; implicit-def: $vgpr20_vgpr21
                                        ; implicit-def: $vgpr28_vgpr29
                                        ; implicit-def: $vgpr24_vgpr25
                                        ; implicit-def: $vgpr36_vgpr37
                                        ; implicit-def: $vgpr8_vgpr9
                                        ; implicit-def: $vgpr16_vgpr17
                                        ; implicit-def: $vgpr4_vgpr5
                                        ; implicit-def: $vgpr12_vgpr13
                                        ; implicit-def: $vgpr0_vgpr1
	s_and_saveexec_b64 s[6:7], s[0:1]
	s_cbranch_execz .LBB0_11
; %bb.10:
	v_mad_u64_u32 v[0:1], s[0:1], s2, v66, 0
	v_add_u32_e32 v7, 5, v66
	v_mad_u64_u32 v[4:5], s[0:1], s2, v7, 0
	v_mad_u64_u32 v[1:2], s[0:1], s3, v66, v[1:2]
	v_lshlrev_b64 v[2:3], 4, v[48:49]
	v_mov_b32_e32 v6, s13
	v_add_co_u32_e64 v8, s[0:1], s12, v2
	v_mov_b32_e32 v2, v5
	v_addc_co_u32_e64 v9, s[0:1], v6, v3, s[0:1]
	v_mad_u64_u32 v[2:3], s[0:1], s3, v7, v[2:3]
	v_add_u32_e32 v3, 10, v66
	v_mad_u64_u32 v[6:7], s[0:1], s2, v3, 0
	v_lshlrev_b64 v[0:1], 4, v[0:1]
	v_mov_b32_e32 v5, v2
	v_add_co_u32_e64 v41, s[0:1], v8, v0
	v_mov_b32_e32 v2, v7
	v_addc_co_u32_e64 v42, s[0:1], v9, v1, s[0:1]
	v_lshlrev_b64 v[0:1], 4, v[4:5]
	v_mad_u64_u32 v[2:3], s[0:1], s3, v3, v[2:3]
	v_add_u32_e32 v5, 15, v66
	v_mad_u64_u32 v[3:4], s[0:1], s2, v5, 0
	v_add_co_u32_e64 v43, s[0:1], v8, v0
	v_mov_b32_e32 v7, v2
	v_mov_b32_e32 v2, v4
	v_addc_co_u32_e64 v44, s[0:1], v9, v1, s[0:1]
	v_lshlrev_b64 v[0:1], 4, v[6:7]
	v_mad_u64_u32 v[4:5], s[0:1], s3, v5, v[2:3]
	v_add_u32_e32 v7, 20, v66
	v_mad_u64_u32 v[5:6], s[0:1], s2, v7, 0
	v_add_co_u32_e64 v45, s[0:1], v8, v0
	v_mov_b32_e32 v2, v6
	v_addc_co_u32_e64 v46, s[0:1], v9, v1, s[0:1]
	v_lshlrev_b64 v[0:1], 4, v[3:4]
	v_mad_u64_u32 v[2:3], s[0:1], s3, v7, v[2:3]
	v_add_u32_e32 v7, 25, v66
	v_mad_u64_u32 v[3:4], s[0:1], s2, v7, 0
	v_add_co_u32_e64 v50, s[0:1], v8, v0
	v_mov_b32_e32 v6, v2
	v_mov_b32_e32 v2, v4
	v_addc_co_u32_e64 v51, s[0:1], v9, v1, s[0:1]
	v_lshlrev_b64 v[0:1], 4, v[5:6]
	v_mad_u64_u32 v[4:5], s[0:1], s3, v7, v[2:3]
	v_add_u32_e32 v7, 30, v66
	v_mad_u64_u32 v[5:6], s[0:1], s2, v7, 0
	v_add_co_u32_e64 v52, s[0:1], v8, v0
	v_mov_b32_e32 v2, v6
	v_addc_co_u32_e64 v53, s[0:1], v9, v1, s[0:1]
	v_lshlrev_b64 v[0:1], 4, v[3:4]
	v_mad_u64_u32 v[2:3], s[0:1], s3, v7, v[2:3]
	v_add_u32_e32 v7, 35, v66
	v_mad_u64_u32 v[3:4], s[0:1], s2, v7, 0
	v_add_co_u32_e64 v54, s[0:1], v8, v0
	v_mov_b32_e32 v6, v2
	v_mov_b32_e32 v2, v4
	v_addc_co_u32_e64 v55, s[0:1], v9, v1, s[0:1]
	v_lshlrev_b64 v[0:1], 4, v[5:6]
	v_mad_u64_u32 v[4:5], s[0:1], s3, v7, v[2:3]
	v_or_b32_e32 v7, 40, v66
	v_mad_u64_u32 v[5:6], s[0:1], s2, v7, 0
	v_add_co_u32_e64 v56, s[0:1], v8, v0
	v_mov_b32_e32 v2, v6
	v_addc_co_u32_e64 v57, s[0:1], v9, v1, s[0:1]
	v_lshlrev_b64 v[0:1], 4, v[3:4]
	v_mad_u64_u32 v[2:3], s[0:1], s3, v7, v[2:3]
	v_add_u32_e32 v7, 45, v66
	v_mad_u64_u32 v[3:4], s[0:1], s2, v7, 0
	v_add_co_u32_e64 v58, s[0:1], v8, v0
	v_mov_b32_e32 v6, v2
	v_mov_b32_e32 v2, v4
	v_addc_co_u32_e64 v59, s[0:1], v9, v1, s[0:1]
	v_lshlrev_b64 v[0:1], 4, v[5:6]
	v_mad_u64_u32 v[4:5], s[0:1], s3, v7, v[2:3]
	v_add_co_u32_e64 v60, s[0:1], v8, v0
	v_addc_co_u32_e64 v61, s[0:1], v9, v1, s[0:1]
	v_lshlrev_b64 v[0:1], 4, v[3:4]
	v_add_co_u32_e64 v62, s[0:1], v8, v0
	v_addc_co_u32_e64 v63, s[0:1], v9, v1, s[0:1]
	global_load_dwordx4 v[32:35], v[41:42], off
	global_load_dwordx4 v[20:23], v[43:44], off
	;; [unrolled: 1-line block ×10, first 2 shown]
.LBB0_11:
	s_or_b64 exec, exec, s[6:7]
	v_mov_b32_e32 v67, v66
.LBB0_12:
	s_or_b64 exec, exec, s[4:5]
	s_waitcnt vmcnt(2)
	v_add_f64 v[41:42], v[4:5], v[8:9]
	s_waitcnt vmcnt(0)
	v_add_f64 v[43:44], v[26:27], -v[2:3]
	v_add_f64 v[45:46], v[0:1], v[24:25]
	s_mov_b32 s6, 0x134454ff
	s_mov_b32 s7, 0xbfee6f0e
	;; [unrolled: 1-line block ×4, first 2 shown]
	v_add_f64 v[50:51], v[10:11], -v[6:7]
	v_fma_f64 v[41:42], v[41:42], -0.5, v[20:21]
	v_add_f64 v[52:53], v[24:25], -v[8:9]
	v_add_f64 v[54:55], v[0:1], -v[4:5]
	v_fma_f64 v[45:46], v[45:46], -0.5, v[20:21]
	v_add_f64 v[62:63], v[6:7], v[10:11]
	v_add_f64 v[64:65], v[2:3], v[26:27]
	s_mov_b32 s10, 0x4755a5e
	s_mov_b32 s11, 0xbfe2cf23
	v_fma_f64 v[58:59], v[43:44], s[6:7], v[41:42]
	v_fma_f64 v[41:42], v[43:44], s[14:15], v[41:42]
	s_mov_b32 s17, 0x3fe2cf23
	s_mov_b32 s16, s10
	v_add_f64 v[52:53], v[54:55], v[52:53]
	v_fma_f64 v[54:55], v[50:51], s[14:15], v[45:46]
	v_fma_f64 v[45:46], v[50:51], s[6:7], v[45:46]
	v_add_f64 v[68:69], v[8:9], -v[4:5]
	v_fma_f64 v[58:59], v[50:51], s[10:11], v[58:59]
	v_fma_f64 v[41:42], v[50:51], s[16:17], v[41:42]
	v_fma_f64 v[50:51], v[62:63], -0.5, v[22:23]
	v_add_f64 v[62:63], v[24:25], -v[0:1]
	v_fma_f64 v[64:65], v[64:65], -0.5, v[22:23]
	s_mov_b32 s4, 0x372fe950
	s_mov_b32 s5, 0x3fd3c6ef
	v_add_f64 v[56:57], v[8:9], -v[24:25]
	v_add_f64 v[60:61], v[4:5], -v[0:1]
	v_fma_f64 v[54:55], v[43:44], s[10:11], v[54:55]
	v_fma_f64 v[43:44], v[43:44], s[16:17], v[45:46]
	v_add_f64 v[45:46], v[26:27], -v[10:11]
	v_add_f64 v[70:71], v[2:3], -v[6:7]
	v_fma_f64 v[72:73], v[62:63], s[14:15], v[50:51]
	v_fma_f64 v[74:75], v[62:63], s[6:7], v[50:51]
	;; [unrolled: 4-line block ×3, first 2 shown]
	v_fma_f64 v[41:42], v[68:69], s[14:15], v[64:65]
	v_add_f64 v[56:57], v[60:61], v[56:57]
	v_fma_f64 v[60:61], v[52:53], s[4:5], v[58:59]
	v_add_f64 v[45:46], v[70:71], v[45:46]
	v_fma_f64 v[58:59], v[68:69], s[16:17], v[72:73]
	v_fma_f64 v[64:65], v[68:69], s[10:11], v[74:75]
	v_add_f64 v[68:69], v[78:79], v[76:77]
	v_fma_f64 v[70:71], v[62:63], s[16:17], v[80:81]
	v_fma_f64 v[41:42], v[62:63], s[10:11], v[41:42]
	s_mov_b32 s0, 0x51eb851f
	v_mul_hi_u32 v47, v40, s0
	v_fma_f64 v[62:63], v[56:57], s[4:5], v[54:55]
	v_fma_f64 v[52:53], v[56:57], s[4:5], v[43:44]
	;; [unrolled: 1-line block ×3, first 2 shown]
	v_lshrrev_b32_e32 v43, 3, v47
	v_fma_f64 v[58:59], v[45:46], s[4:5], v[64:65]
	v_fma_f64 v[56:57], v[68:69], s[4:5], v[70:71]
	;; [unrolled: 1-line block ×3, first 2 shown]
	v_mul_lo_u32 v43, v43, 25
	v_cmp_gt_u32_e64 s[0:1], 5, v66
	v_sub_u32_e32 v40, v40, v43
	v_mul_u32_u24_e32 v40, 50, v40
	v_lshlrev_b32_e32 v68, 3, v40
	s_and_saveexec_b64 s[18:19], s[0:1]
	s_cbranch_execz .LBB0_14
; %bb.13:
	v_add_f64 v[40:41], v[12:13], v[28:29]
	v_add_f64 v[44:45], v[16:17], v[36:37]
	v_add_f64 v[42:43], v[28:29], -v[36:37]
	v_add_f64 v[46:47], v[12:13], -v[16:17]
	;; [unrolled: 1-line block ×6, first 2 shown]
	v_fma_f64 v[40:41], v[40:41], -0.5, v[32:33]
	v_fma_f64 v[44:45], v[44:45], -0.5, v[32:33]
	v_add_f64 v[32:33], v[28:29], v[32:33]
	v_add_f64 v[20:21], v[24:25], v[20:21]
	;; [unrolled: 1-line block ×3, first 2 shown]
	v_mul_f64 v[73:74], v[58:59], s[10:11]
	s_mov_b32 s21, 0xbfe9e377
	v_add_f64 v[46:47], v[77:78], v[75:76]
	v_fma_f64 v[42:43], v[71:72], s[6:7], v[40:41]
	v_fma_f64 v[40:41], v[71:72], s[14:15], v[40:41]
	;; [unrolled: 1-line block ×4, first 2 shown]
	v_add_f64 v[32:33], v[36:37], v[32:33]
	v_add_f64 v[8:9], v[8:9], v[20:21]
	s_mov_b32 s20, 0x9b97f4a8
	v_fma_f64 v[77:78], v[50:51], s[20:21], v[73:74]
	v_fma_f64 v[20:21], v[69:70], s[16:17], v[42:43]
	v_fma_f64 v[40:41], v[69:70], s[10:11], v[40:41]
	v_fma_f64 v[69:70], v[71:72], s[16:17], v[75:76]
	v_fma_f64 v[44:45], v[71:72], s[10:11], v[44:45]
	v_mul_f64 v[71:72], v[54:55], s[10:11]
	v_add_f64 v[32:33], v[16:17], v[32:33]
	v_add_f64 v[4:5], v[4:5], v[8:9]
	v_mul_f64 v[42:43], v[56:57], s[6:7]
	v_fma_f64 v[8:9], v[46:47], s[4:5], v[20:21]
	v_fma_f64 v[20:21], v[46:47], s[4:5], v[40:41]
	v_mul_f64 v[40:41], v[64:65], s[6:7]
	s_mov_b32 s21, 0x3fe9e377
	v_fma_f64 v[44:45], v[24:25], s[4:5], v[44:45]
	v_fma_f64 v[46:47], v[60:61], s[20:21], v[71:72]
	v_add_f64 v[32:33], v[12:13], v[32:33]
	v_add_f64 v[0:1], v[0:1], v[4:5]
	s_mov_b32 s7, 0xbfd3c6ef
	s_mov_b32 s6, s4
	v_fma_f64 v[73:74], v[62:63], s[4:5], v[42:43]
	v_fma_f64 v[4:5], v[52:53], s[6:7], v[40:41]
	;; [unrolled: 1-line block ×3, first 2 shown]
	v_add_f64 v[40:41], v[44:45], -v[46:47]
	v_add_f64 v[46:47], v[44:45], v[46:47]
	v_add_f64 v[44:45], v[0:1], v[32:33]
	v_add_f64 v[71:72], v[32:33], -v[0:1]
	v_mul_u32_u24_e32 v0, 10, v66
	v_add_f64 v[42:43], v[20:21], -v[73:74]
	v_add_f64 v[73:74], v[20:21], v[73:74]
	v_add_f64 v[75:76], v[8:9], v[4:5]
	;; [unrolled: 1-line block ×3, first 2 shown]
	v_add_f64 v[79:80], v[24:25], -v[77:78]
	v_add_f64 v[77:78], v[8:9], -v[4:5]
	v_lshlrev_b32_e32 v0, 3, v0
	v_add3_u32 v0, 0, v0, v68
	ds_write_b128 v0, v[44:47]
	ds_write_b128 v0, v[73:76] offset:16
	ds_write_b128 v0, v[69:72] offset:32
	;; [unrolled: 1-line block ×4, first 2 shown]
.LBB0_14:
	s_or_b64 exec, exec, s[18:19]
	v_lshlrev_b32_e32 v5, 3, v66
	v_add_u32_e32 v8, 0, v5
	v_add3_u32 v4, 0, v68, v5
	v_add_u32_e32 v5, v8, v68
	s_waitcnt lgkmcnt(0)
	s_barrier
	ds_read_b64 v[0:1], v4
	ds_read2_b64 v[40:43], v5 offset0:10 offset1:20
	ds_read2_b64 v[44:47], v5 offset0:30 offset1:40
	s_waitcnt lgkmcnt(0)
	s_barrier
	s_and_saveexec_b64 s[4:5], s[0:1]
	s_cbranch_execz .LBB0_16
; %bb.15:
	v_add_f64 v[20:21], v[18:19], v[38:39]
	v_add_f64 v[24:25], v[30:31], v[34:35]
	v_add_f64 v[12:13], v[28:29], -v[12:13]
	v_add_f64 v[32:33], v[14:15], v[30:31]
	s_mov_b32 s0, 0x134454ff
	s_mov_b32 s1, 0x3fee6f0e
	v_add_f64 v[22:23], v[26:27], v[22:23]
	v_add_f64 v[16:17], v[36:37], -v[16:17]
	v_fma_f64 v[20:21], v[20:21], -0.5, v[34:35]
	v_add_f64 v[28:29], v[30:31], -v[38:39]
	v_add_f64 v[36:37], v[14:15], -v[18:19]
	v_add_f64 v[24:25], v[38:39], v[24:25]
	v_fma_f64 v[32:33], v[32:33], -0.5, v[34:35]
	s_mov_b32 s6, 0x4755a5e
	s_mov_b32 s7, 0x3fe2cf23
	;; [unrolled: 1-line block ×3, first 2 shown]
	v_fma_f64 v[69:70], v[12:13], s[0:1], v[20:21]
	s_mov_b32 s14, s0
	v_add_f64 v[9:10], v[10:11], v[22:23]
	v_add_f64 v[30:31], v[38:39], -v[30:31]
	v_add_f64 v[26:27], v[36:37], v[28:29]
	v_add_f64 v[24:25], v[18:19], v[24:25]
	v_fma_f64 v[20:21], v[12:13], s[14:15], v[20:21]
	v_fma_f64 v[34:35], v[16:17], s[14:15], v[32:33]
	v_fma_f64 v[28:29], v[16:17], s[6:7], v[69:70]
	v_add_f64 v[18:19], v[18:19], -v[14:15]
	v_fma_f64 v[32:33], v[16:17], s[0:1], v[32:33]
	s_mov_b32 s10, 0x372fe950
	s_mov_b32 s11, 0x3fd3c6ef
	;; [unrolled: 1-line block ×4, first 2 shown]
	v_add_f64 v[6:7], v[6:7], v[9:10]
	v_mul_f64 v[9:10], v[60:61], s[6:7]
	s_mov_b32 s14, 0x9b97f4a8
	v_add_f64 v[22:23], v[14:15], v[24:25]
	v_fma_f64 v[24:25], v[26:27], s[10:11], v[28:29]
	v_fma_f64 v[14:15], v[16:17], s[16:17], v[20:21]
	;; [unrolled: 1-line block ×3, first 2 shown]
	v_add_f64 v[18:19], v[18:19], v[30:31]
	v_fma_f64 v[11:12], v[12:13], s[16:17], v[32:33]
	s_mov_b32 s15, 0x3fe9e377
	v_mul_f64 v[20:21], v[62:63], s[0:1]
	v_mul_f64 v[28:29], v[64:65], s[10:11]
	;; [unrolled: 1-line block ×3, first 2 shown]
	v_add_f64 v[2:3], v[2:3], v[6:7]
	v_fma_f64 v[6:7], v[54:55], s[14:15], v[9:10]
	v_fma_f64 v[32:33], v[26:27], s[10:11], v[14:15]
	;; [unrolled: 1-line block ×5, first 2 shown]
	v_fma_f64 v[28:29], v[52:53], s[0:1], -v[28:29]
	v_fma_f64 v[30:31], v[50:51], s[6:7], -v[30:31]
	v_add_f64 v[9:10], v[2:3], v[22:23]
	v_add_f64 v[11:12], v[24:25], v[6:7]
	v_add_f64 v[19:20], v[22:23], -v[2:3]
	v_add_f64 v[21:22], v[24:25], -v[6:7]
	v_mul_u32_u24_e32 v2, 0x48, v66
	v_add_f64 v[13:14], v[26:27], v[36:37]
	v_add_f64 v[15:16], v[34:35], v[28:29]
	v_add_f64 v[17:18], v[32:33], v[30:31]
	v_add_f64 v[23:24], v[26:27], -v[36:37]
	v_add_f64 v[25:26], v[34:35], -v[28:29]
	;; [unrolled: 1-line block ×3, first 2 shown]
	v_add3_u32 v2, v8, v2, v68
	ds_write_b128 v2, v[9:12]
	ds_write_b128 v2, v[13:16] offset:16
	ds_write_b128 v2, v[17:20] offset:32
	;; [unrolled: 1-line block ×4, first 2 shown]
.LBB0_16:
	s_or_b64 exec, exec, s[4:5]
	s_waitcnt lgkmcnt(0)
	s_barrier
	s_and_saveexec_b64 s[0:1], vcc
	s_cbranch_execz .LBB0_18
; %bb.17:
	v_lshlrev_b32_e32 v2, 2, v66
	v_mov_b32_e32 v3, 0
	v_lshlrev_b64 v[2:3], 4, v[2:3]
	v_mov_b32_e32 v6, s9
	v_add_co_u32_e32 v2, vcc, s8, v2
	v_addc_co_u32_e32 v3, vcc, v6, v3, vcc
	global_load_dwordx4 v[6:9], v[2:3], off offset:16
	global_load_dwordx4 v[10:13], v[2:3], off
	global_load_dwordx4 v[14:17], v[2:3], off offset:32
	global_load_dwordx4 v[18:21], v[2:3], off offset:48
	ds_read2_b64 v[22:25], v5 offset0:10 offset1:20
	ds_read2_b64 v[26:29], v5 offset0:30 offset1:40
	ds_read_b64 v[2:3], v4
	v_mad_u64_u32 v[4:5], s[14:15], s2, v67, 0
	v_lshlrev_b64 v[30:31], 4, v[48:49]
	v_add_u32_e32 v39, 10, v67
	v_add_u32_e32 v48, 20, v67
	v_mad_u64_u32 v[32:33], s[14:15], s2, v39, 0
	v_mad_u64_u32 v[34:35], s[14:15], s2, v48, 0
	v_mov_b32_e32 v38, s13
	v_add_co_u32_e32 v61, vcc, s12, v30
	v_addc_co_u32_e32 v62, vcc, v38, v31, vcc
	s_mov_b32 s4, 0x134454ff
	s_mov_b32 s5, 0x3fee6f0e
	;; [unrolled: 1-line block ×10, first 2 shown]
	v_add_u32_e32 v60, 30, v67
	v_mad_u64_u32 v[36:37], s[14:15], s2, v60, 0
	s_waitcnt vmcnt(3)
	v_mad_u64_u32 v[30:31], s[12:13], s3, v67, v[5:6]
	v_mov_b32_e32 v5, v33
	v_mov_b32_e32 v31, v35
	v_mad_u64_u32 v[38:39], s[12:13], s3, v39, v[5:6]
	v_mad_u64_u32 v[48:49], s[12:13], s3, v48, v[31:32]
	v_mov_b32_e32 v5, v30
	v_lshlrev_b64 v[4:5], 4, v[4:5]
	v_mov_b32_e32 v33, v38
	v_mov_b32_e32 v35, v48
	v_lshlrev_b64 v[30:31], 4, v[32:33]
	v_lshlrev_b64 v[32:33], 4, v[34:35]
	v_add_co_u32_e32 v34, vcc, v61, v4
	v_addc_co_u32_e32 v35, vcc, v62, v5, vcc
	v_mul_f64 v[4:5], v[42:43], v[8:9]
	s_waitcnt vmcnt(2)
	v_mul_f64 v[38:39], v[40:41], v[12:13]
	s_waitcnt vmcnt(1)
	;; [unrolled: 2-line block ×3, first 2 shown]
	v_mul_f64 v[50:51], v[46:47], v[20:21]
	s_waitcnt lgkmcnt(2)
	v_mul_f64 v[8:9], v[24:25], v[8:9]
	s_waitcnt lgkmcnt(1)
	v_mul_f64 v[16:17], v[26:27], v[16:17]
	v_mul_f64 v[12:13], v[22:23], v[12:13]
	v_mul_f64 v[20:21], v[28:29], v[20:21]
	v_fma_f64 v[4:5], v[24:25], v[6:7], -v[4:5]
	v_fma_f64 v[22:23], v[22:23], v[10:11], -v[38:39]
	;; [unrolled: 1-line block ×4, first 2 shown]
	v_fma_f64 v[6:7], v[42:43], v[6:7], v[8:9]
	v_fma_f64 v[8:9], v[44:45], v[14:15], v[16:17]
	;; [unrolled: 1-line block ×4, first 2 shown]
	v_add_co_u32_e32 v20, vcc, v61, v30
	v_add_f64 v[14:15], v[4:5], -v[22:23]
	v_add_f64 v[16:17], v[24:25], -v[26:27]
	v_add_f64 v[28:29], v[22:23], v[26:27]
	v_add_f64 v[38:39], v[22:23], -v[4:5]
	v_add_f64 v[40:41], v[26:27], -v[24:25]
	v_add_f64 v[42:43], v[4:5], v[24:25]
	s_waitcnt lgkmcnt(0)
	v_add_f64 v[44:45], v[22:23], v[2:3]
	v_add_f64 v[50:51], v[10:11], v[12:13]
	;; [unrolled: 1-line block ×3, first 2 shown]
	v_addc_co_u32_e32 v21, vcc, v62, v31, vcc
	v_add_f64 v[30:31], v[10:11], -v[12:13]
	v_add_f64 v[46:47], v[6:7], -v[10:11]
	;; [unrolled: 1-line block ×3, first 2 shown]
	v_add_f64 v[10:11], v[0:1], v[10:11]
	v_add_f64 v[18:19], v[6:7], -v[8:9]
	v_add_f64 v[22:23], v[22:23], -v[26:27]
	;; [unrolled: 1-line block ×3, first 2 shown]
	v_add_f64 v[14:15], v[14:15], v[16:17]
	v_fma_f64 v[16:17], v[28:29], -0.5, v[2:3]
	v_add_f64 v[28:29], v[38:39], v[40:41]
	v_fma_f64 v[2:3], v[42:43], -0.5, v[2:3]
	;; [unrolled: 2-line block ×3, first 2 shown]
	v_fma_f64 v[0:1], v[58:59], -0.5, v[0:1]
	v_add_f64 v[48:49], v[8:9], -v[12:13]
	v_add_f64 v[6:7], v[6:7], v[10:11]
	v_add_f64 v[56:57], v[12:13], -v[8:9]
	v_fma_f64 v[10:11], v[18:19], s[4:5], v[16:17]
	v_fma_f64 v[44:45], v[30:31], s[10:11], v[2:3]
	;; [unrolled: 1-line block ×3, first 2 shown]
	v_add_f64 v[4:5], v[24:25], v[4:5]
	v_fma_f64 v[24:25], v[22:23], s[10:11], v[0:1]
	v_add_f64 v[38:39], v[46:47], v[48:49]
	v_fma_f64 v[16:17], v[18:19], s[10:11], v[16:17]
	v_fma_f64 v[46:47], v[52:53], s[10:11], v[40:41]
	;; [unrolled: 1-line block ×4, first 2 shown]
	v_add_f64 v[6:7], v[6:7], v[8:9]
	v_add_f64 v[42:43], v[54:55], v[56:57]
	v_fma_f64 v[8:9], v[30:31], s[6:7], v[10:11]
	v_fma_f64 v[10:11], v[18:19], s[8:9], v[2:3]
	;; [unrolled: 1-line block ×4, first 2 shown]
	v_add_f64 v[2:3], v[26:27], v[4:5]
	v_fma_f64 v[26:27], v[22:23], s[8:9], v[46:47]
	v_fma_f64 v[22:23], v[22:23], s[6:7], v[40:41]
	;; [unrolled: 1-line block ×3, first 2 shown]
	v_add_f64 v[0:1], v[6:7], v[12:13]
	v_fma_f64 v[18:19], v[18:19], s[6:7], v[44:45]
	v_fma_f64 v[6:7], v[28:29], s[0:1], v[10:11]
	;; [unrolled: 1-line block ×6, first 2 shown]
	global_store_dwordx4 v[34:35], v[0:3], off
	global_store_dwordx4 v[20:21], v[4:7], off
	v_mov_b32_e32 v2, v37
	v_fma_f64 v[18:19], v[28:29], s[0:1], v[18:19]
	v_fma_f64 v[8:9], v[38:39], s[0:1], v[26:27]
	;; [unrolled: 1-line block ×3, first 2 shown]
	v_mad_u64_u32 v[2:3], s[0:1], s3, v60, v[2:3]
	v_add_u32_e32 v5, 40, v67
	v_mad_u64_u32 v[3:4], s[0:1], s2, v5, 0
	v_add_co_u32_e32 v0, vcc, v61, v32
	v_addc_co_u32_e32 v1, vcc, v62, v33, vcc
	v_mov_b32_e32 v37, v2
	v_mov_b32_e32 v2, v4
	global_store_dwordx4 v[0:1], v[12:15], off
	v_lshlrev_b64 v[0:1], 4, v[36:37]
	v_mad_u64_u32 v[4:5], s[0:1], s3, v5, v[2:3]
	v_add_co_u32_e32 v0, vcc, v61, v0
	v_addc_co_u32_e32 v1, vcc, v62, v1, vcc
	global_store_dwordx4 v[0:1], v[8:11], off
	v_lshlrev_b64 v[0:1], 4, v[3:4]
	v_add_co_u32_e32 v0, vcc, v61, v0
	v_addc_co_u32_e32 v1, vcc, v62, v1, vcc
	global_store_dwordx4 v[0:1], v[16:19], off
.LBB0_18:
	s_endpgm
	.section	.rodata,"a",@progbits
	.p2align	6, 0x0
	.amdhsa_kernel fft_rtc_back_len50_factors_10_5_wgs_250_tpt_10_halfLds_dp_ip_CI_sbrr_dirReg
		.amdhsa_group_segment_fixed_size 0
		.amdhsa_private_segment_fixed_size 0
		.amdhsa_kernarg_size 88
		.amdhsa_user_sgpr_count 6
		.amdhsa_user_sgpr_private_segment_buffer 1
		.amdhsa_user_sgpr_dispatch_ptr 0
		.amdhsa_user_sgpr_queue_ptr 0
		.amdhsa_user_sgpr_kernarg_segment_ptr 1
		.amdhsa_user_sgpr_dispatch_id 0
		.amdhsa_user_sgpr_flat_scratch_init 0
		.amdhsa_user_sgpr_private_segment_size 0
		.amdhsa_uses_dynamic_stack 0
		.amdhsa_system_sgpr_private_segment_wavefront_offset 0
		.amdhsa_system_sgpr_workgroup_id_x 1
		.amdhsa_system_sgpr_workgroup_id_y 0
		.amdhsa_system_sgpr_workgroup_id_z 0
		.amdhsa_system_sgpr_workgroup_info 0
		.amdhsa_system_vgpr_workitem_id 0
		.amdhsa_next_free_vgpr 82
		.amdhsa_next_free_sgpr 24
		.amdhsa_reserve_vcc 1
		.amdhsa_reserve_flat_scratch 0
		.amdhsa_float_round_mode_32 0
		.amdhsa_float_round_mode_16_64 0
		.amdhsa_float_denorm_mode_32 3
		.amdhsa_float_denorm_mode_16_64 3
		.amdhsa_dx10_clamp 1
		.amdhsa_ieee_mode 1
		.amdhsa_fp16_overflow 0
		.amdhsa_exception_fp_ieee_invalid_op 0
		.amdhsa_exception_fp_denorm_src 0
		.amdhsa_exception_fp_ieee_div_zero 0
		.amdhsa_exception_fp_ieee_overflow 0
		.amdhsa_exception_fp_ieee_underflow 0
		.amdhsa_exception_fp_ieee_inexact 0
		.amdhsa_exception_int_div_zero 0
	.end_amdhsa_kernel
	.text
.Lfunc_end0:
	.size	fft_rtc_back_len50_factors_10_5_wgs_250_tpt_10_halfLds_dp_ip_CI_sbrr_dirReg, .Lfunc_end0-fft_rtc_back_len50_factors_10_5_wgs_250_tpt_10_halfLds_dp_ip_CI_sbrr_dirReg
                                        ; -- End function
	.section	.AMDGPU.csdata,"",@progbits
; Kernel info:
; codeLenInByte = 4444
; NumSgprs: 28
; NumVgprs: 82
; ScratchSize: 0
; MemoryBound: 1
; FloatMode: 240
; IeeeMode: 1
; LDSByteSize: 0 bytes/workgroup (compile time only)
; SGPRBlocks: 3
; VGPRBlocks: 20
; NumSGPRsForWavesPerEU: 28
; NumVGPRsForWavesPerEU: 82
; Occupancy: 3
; WaveLimiterHint : 1
; COMPUTE_PGM_RSRC2:SCRATCH_EN: 0
; COMPUTE_PGM_RSRC2:USER_SGPR: 6
; COMPUTE_PGM_RSRC2:TRAP_HANDLER: 0
; COMPUTE_PGM_RSRC2:TGID_X_EN: 1
; COMPUTE_PGM_RSRC2:TGID_Y_EN: 0
; COMPUTE_PGM_RSRC2:TGID_Z_EN: 0
; COMPUTE_PGM_RSRC2:TIDIG_COMP_CNT: 0
	.type	__hip_cuid_a8787dccd79cbe34,@object ; @__hip_cuid_a8787dccd79cbe34
	.section	.bss,"aw",@nobits
	.globl	__hip_cuid_a8787dccd79cbe34
__hip_cuid_a8787dccd79cbe34:
	.byte	0                               ; 0x0
	.size	__hip_cuid_a8787dccd79cbe34, 1

	.ident	"AMD clang version 19.0.0git (https://github.com/RadeonOpenCompute/llvm-project roc-6.4.0 25133 c7fe45cf4b819c5991fe208aaa96edf142730f1d)"
	.section	".note.GNU-stack","",@progbits
	.addrsig
	.addrsig_sym __hip_cuid_a8787dccd79cbe34
	.amdgpu_metadata
---
amdhsa.kernels:
  - .args:
      - .actual_access:  read_only
        .address_space:  global
        .offset:         0
        .size:           8
        .value_kind:     global_buffer
      - .offset:         8
        .size:           8
        .value_kind:     by_value
      - .actual_access:  read_only
        .address_space:  global
        .offset:         16
        .size:           8
        .value_kind:     global_buffer
      - .actual_access:  read_only
        .address_space:  global
        .offset:         24
        .size:           8
        .value_kind:     global_buffer
      - .offset:         32
        .size:           8
        .value_kind:     by_value
      - .actual_access:  read_only
        .address_space:  global
        .offset:         40
        .size:           8
        .value_kind:     global_buffer
      - .actual_access:  read_only
        .address_space:  global
        .offset:         48
        .size:           8
        .value_kind:     global_buffer
      - .offset:         56
        .size:           4
        .value_kind:     by_value
      - .actual_access:  read_only
        .address_space:  global
        .offset:         64
        .size:           8
        .value_kind:     global_buffer
      - .actual_access:  read_only
        .address_space:  global
        .offset:         72
        .size:           8
        .value_kind:     global_buffer
      - .address_space:  global
        .offset:         80
        .size:           8
        .value_kind:     global_buffer
    .group_segment_fixed_size: 0
    .kernarg_segment_align: 8
    .kernarg_segment_size: 88
    .language:       OpenCL C
    .language_version:
      - 2
      - 0
    .max_flat_workgroup_size: 250
    .name:           fft_rtc_back_len50_factors_10_5_wgs_250_tpt_10_halfLds_dp_ip_CI_sbrr_dirReg
    .private_segment_fixed_size: 0
    .sgpr_count:     28
    .sgpr_spill_count: 0
    .symbol:         fft_rtc_back_len50_factors_10_5_wgs_250_tpt_10_halfLds_dp_ip_CI_sbrr_dirReg.kd
    .uniform_work_group_size: 1
    .uses_dynamic_stack: false
    .vgpr_count:     82
    .vgpr_spill_count: 0
    .wavefront_size: 64
amdhsa.target:   amdgcn-amd-amdhsa--gfx906
amdhsa.version:
  - 1
  - 2
...

	.end_amdgpu_metadata
